;; amdgpu-corpus repo=ROCm/rocFFT kind=compiled arch=gfx1100 opt=O3
	.text
	.amdgcn_target "amdgcn-amd-amdhsa--gfx1100"
	.amdhsa_code_object_version 6
	.protected	fft_rtc_fwd_len52_factors_13_4_wgs_64_tpt_4_halfLds_dp_ip_CI_unitstride_sbrr_R2C_dirReg ; -- Begin function fft_rtc_fwd_len52_factors_13_4_wgs_64_tpt_4_halfLds_dp_ip_CI_unitstride_sbrr_R2C_dirReg
	.globl	fft_rtc_fwd_len52_factors_13_4_wgs_64_tpt_4_halfLds_dp_ip_CI_unitstride_sbrr_R2C_dirReg
	.p2align	8
	.type	fft_rtc_fwd_len52_factors_13_4_wgs_64_tpt_4_halfLds_dp_ip_CI_unitstride_sbrr_R2C_dirReg,@function
fft_rtc_fwd_len52_factors_13_4_wgs_64_tpt_4_halfLds_dp_ip_CI_unitstride_sbrr_R2C_dirReg: ; @fft_rtc_fwd_len52_factors_13_4_wgs_64_tpt_4_halfLds_dp_ip_CI_unitstride_sbrr_R2C_dirReg
; %bb.0:
	s_clause 0x2
	s_load_b128 s[4:7], s[0:1], 0x0
	s_load_b64 s[8:9], s[0:1], 0x50
	s_load_b64 s[10:11], s[0:1], 0x18
	v_lshrrev_b32_e32 v9, 2, v0
	v_mov_b32_e32 v1, 0
	v_mov_b32_e32 v3, 0
	;; [unrolled: 1-line block ×3, first 2 shown]
	s_delay_alu instid0(VALU_DEP_4) | instskip(NEXT) | instid1(VALU_DEP_4)
	v_lshl_or_b32 v5, s15, 4, v9
	v_mov_b32_e32 v6, v1
	s_waitcnt lgkmcnt(0)
	v_cmp_lt_u64_e64 s2, s[6:7], 2
	s_delay_alu instid0(VALU_DEP_1)
	s_and_b32 vcc_lo, exec_lo, s2
	s_cbranch_vccnz .LBB0_8
; %bb.1:
	s_load_b64 s[2:3], s[0:1], 0x10
	v_mov_b32_e32 v3, 0
	s_add_u32 s12, s10, 8
	v_mov_b32_e32 v4, 0
	s_addc_u32 s13, s11, 0
	s_mov_b64 s[16:17], 1
	s_waitcnt lgkmcnt(0)
	s_add_u32 s14, s2, 8
	s_addc_u32 s15, s3, 0
.LBB0_2:                                ; =>This Inner Loop Header: Depth=1
	s_load_b64 s[18:19], s[14:15], 0x0
                                        ; implicit-def: $vgpr7_vgpr8
	s_mov_b32 s2, exec_lo
	s_waitcnt lgkmcnt(0)
	v_or_b32_e32 v2, s19, v6
	s_delay_alu instid0(VALU_DEP_1)
	v_cmpx_ne_u64_e32 0, v[1:2]
	s_xor_b32 s3, exec_lo, s2
	s_cbranch_execz .LBB0_4
; %bb.3:                                ;   in Loop: Header=BB0_2 Depth=1
	v_cvt_f32_u32_e32 v2, s18
	v_cvt_f32_u32_e32 v7, s19
	s_sub_u32 s2, 0, s18
	s_subb_u32 s20, 0, s19
	s_delay_alu instid0(VALU_DEP_1) | instskip(NEXT) | instid1(VALU_DEP_1)
	v_fmac_f32_e32 v2, 0x4f800000, v7
	v_rcp_f32_e32 v2, v2
	s_waitcnt_depctr 0xfff
	v_mul_f32_e32 v2, 0x5f7ffffc, v2
	s_delay_alu instid0(VALU_DEP_1) | instskip(NEXT) | instid1(VALU_DEP_1)
	v_mul_f32_e32 v7, 0x2f800000, v2
	v_trunc_f32_e32 v7, v7
	s_delay_alu instid0(VALU_DEP_1) | instskip(SKIP_1) | instid1(VALU_DEP_2)
	v_fmac_f32_e32 v2, 0xcf800000, v7
	v_cvt_u32_f32_e32 v7, v7
	v_cvt_u32_f32_e32 v2, v2
	s_delay_alu instid0(VALU_DEP_2) | instskip(NEXT) | instid1(VALU_DEP_2)
	v_mul_lo_u32 v8, s2, v7
	v_mul_hi_u32 v10, s2, v2
	v_mul_lo_u32 v11, s20, v2
	s_delay_alu instid0(VALU_DEP_2) | instskip(SKIP_1) | instid1(VALU_DEP_2)
	v_add_nc_u32_e32 v8, v10, v8
	v_mul_lo_u32 v10, s2, v2
	v_add_nc_u32_e32 v8, v8, v11
	s_delay_alu instid0(VALU_DEP_2) | instskip(NEXT) | instid1(VALU_DEP_2)
	v_mul_hi_u32 v11, v2, v10
	v_mul_lo_u32 v12, v2, v8
	v_mul_hi_u32 v13, v2, v8
	v_mul_hi_u32 v14, v7, v10
	v_mul_lo_u32 v10, v7, v10
	v_mul_hi_u32 v15, v7, v8
	v_mul_lo_u32 v8, v7, v8
	v_add_co_u32 v11, vcc_lo, v11, v12
	v_add_co_ci_u32_e32 v12, vcc_lo, 0, v13, vcc_lo
	s_delay_alu instid0(VALU_DEP_2) | instskip(NEXT) | instid1(VALU_DEP_2)
	v_add_co_u32 v10, vcc_lo, v11, v10
	v_add_co_ci_u32_e32 v10, vcc_lo, v12, v14, vcc_lo
	v_add_co_ci_u32_e32 v11, vcc_lo, 0, v15, vcc_lo
	s_delay_alu instid0(VALU_DEP_2) | instskip(NEXT) | instid1(VALU_DEP_2)
	v_add_co_u32 v8, vcc_lo, v10, v8
	v_add_co_ci_u32_e32 v10, vcc_lo, 0, v11, vcc_lo
	s_delay_alu instid0(VALU_DEP_2) | instskip(NEXT) | instid1(VALU_DEP_2)
	v_add_co_u32 v2, vcc_lo, v2, v8
	v_add_co_ci_u32_e32 v7, vcc_lo, v7, v10, vcc_lo
	s_delay_alu instid0(VALU_DEP_2) | instskip(SKIP_1) | instid1(VALU_DEP_3)
	v_mul_hi_u32 v8, s2, v2
	v_mul_lo_u32 v11, s20, v2
	v_mul_lo_u32 v10, s2, v7
	s_delay_alu instid0(VALU_DEP_1) | instskip(SKIP_1) | instid1(VALU_DEP_2)
	v_add_nc_u32_e32 v8, v8, v10
	v_mul_lo_u32 v10, s2, v2
	v_add_nc_u32_e32 v8, v8, v11
	s_delay_alu instid0(VALU_DEP_2) | instskip(NEXT) | instid1(VALU_DEP_2)
	v_mul_hi_u32 v11, v2, v10
	v_mul_lo_u32 v12, v2, v8
	v_mul_hi_u32 v13, v2, v8
	v_mul_hi_u32 v14, v7, v10
	v_mul_lo_u32 v10, v7, v10
	v_mul_hi_u32 v15, v7, v8
	v_mul_lo_u32 v8, v7, v8
	v_add_co_u32 v11, vcc_lo, v11, v12
	v_add_co_ci_u32_e32 v12, vcc_lo, 0, v13, vcc_lo
	s_delay_alu instid0(VALU_DEP_2) | instskip(NEXT) | instid1(VALU_DEP_2)
	v_add_co_u32 v10, vcc_lo, v11, v10
	v_add_co_ci_u32_e32 v10, vcc_lo, v12, v14, vcc_lo
	v_add_co_ci_u32_e32 v11, vcc_lo, 0, v15, vcc_lo
	s_delay_alu instid0(VALU_DEP_2) | instskip(NEXT) | instid1(VALU_DEP_2)
	v_add_co_u32 v8, vcc_lo, v10, v8
	v_add_co_ci_u32_e32 v10, vcc_lo, 0, v11, vcc_lo
	s_delay_alu instid0(VALU_DEP_2) | instskip(NEXT) | instid1(VALU_DEP_2)
	v_add_co_u32 v2, vcc_lo, v2, v8
	v_add_co_ci_u32_e32 v14, vcc_lo, v7, v10, vcc_lo
	s_delay_alu instid0(VALU_DEP_2) | instskip(SKIP_1) | instid1(VALU_DEP_3)
	v_mul_hi_u32 v15, v5, v2
	v_mad_u64_u32 v[10:11], null, v6, v2, 0
	v_mad_u64_u32 v[7:8], null, v5, v14, 0
	;; [unrolled: 1-line block ×3, first 2 shown]
	s_delay_alu instid0(VALU_DEP_2) | instskip(NEXT) | instid1(VALU_DEP_3)
	v_add_co_u32 v2, vcc_lo, v15, v7
	v_add_co_ci_u32_e32 v7, vcc_lo, 0, v8, vcc_lo
	s_delay_alu instid0(VALU_DEP_2) | instskip(NEXT) | instid1(VALU_DEP_2)
	v_add_co_u32 v2, vcc_lo, v2, v10
	v_add_co_ci_u32_e32 v2, vcc_lo, v7, v11, vcc_lo
	v_add_co_ci_u32_e32 v7, vcc_lo, 0, v13, vcc_lo
	s_delay_alu instid0(VALU_DEP_2) | instskip(NEXT) | instid1(VALU_DEP_2)
	v_add_co_u32 v2, vcc_lo, v2, v12
	v_add_co_ci_u32_e32 v10, vcc_lo, 0, v7, vcc_lo
	s_delay_alu instid0(VALU_DEP_2) | instskip(SKIP_1) | instid1(VALU_DEP_3)
	v_mul_lo_u32 v11, s19, v2
	v_mad_u64_u32 v[7:8], null, s18, v2, 0
	v_mul_lo_u32 v12, s18, v10
	s_delay_alu instid0(VALU_DEP_2) | instskip(NEXT) | instid1(VALU_DEP_2)
	v_sub_co_u32 v7, vcc_lo, v5, v7
	v_add3_u32 v8, v8, v12, v11
	s_delay_alu instid0(VALU_DEP_1) | instskip(NEXT) | instid1(VALU_DEP_1)
	v_sub_nc_u32_e32 v11, v6, v8
	v_subrev_co_ci_u32_e64 v11, s2, s19, v11, vcc_lo
	v_add_co_u32 v12, s2, v2, 2
	s_delay_alu instid0(VALU_DEP_1) | instskip(SKIP_3) | instid1(VALU_DEP_3)
	v_add_co_ci_u32_e64 v13, s2, 0, v10, s2
	v_sub_co_u32 v14, s2, v7, s18
	v_sub_co_ci_u32_e32 v8, vcc_lo, v6, v8, vcc_lo
	v_subrev_co_ci_u32_e64 v11, s2, 0, v11, s2
	v_cmp_le_u32_e32 vcc_lo, s18, v14
	s_delay_alu instid0(VALU_DEP_3) | instskip(SKIP_1) | instid1(VALU_DEP_4)
	v_cmp_eq_u32_e64 s2, s19, v8
	v_cndmask_b32_e64 v14, 0, -1, vcc_lo
	v_cmp_le_u32_e32 vcc_lo, s19, v11
	v_cndmask_b32_e64 v15, 0, -1, vcc_lo
	v_cmp_le_u32_e32 vcc_lo, s18, v7
	;; [unrolled: 2-line block ×3, first 2 shown]
	v_cndmask_b32_e64 v16, 0, -1, vcc_lo
	v_cmp_eq_u32_e32 vcc_lo, s19, v11
	s_delay_alu instid0(VALU_DEP_2) | instskip(SKIP_3) | instid1(VALU_DEP_3)
	v_cndmask_b32_e64 v7, v16, v7, s2
	v_cndmask_b32_e32 v11, v15, v14, vcc_lo
	v_add_co_u32 v14, vcc_lo, v2, 1
	v_add_co_ci_u32_e32 v15, vcc_lo, 0, v10, vcc_lo
	v_cmp_ne_u32_e32 vcc_lo, 0, v11
	s_delay_alu instid0(VALU_DEP_2) | instskip(SKIP_1) | instid1(VALU_DEP_2)
	v_dual_cndmask_b32 v8, v15, v13 :: v_dual_cndmask_b32 v11, v14, v12
	v_cmp_ne_u32_e32 vcc_lo, 0, v7
	v_cndmask_b32_e32 v7, v2, v11, vcc_lo
	s_delay_alu instid0(VALU_DEP_3)
	v_cndmask_b32_e32 v8, v10, v8, vcc_lo
.LBB0_4:                                ;   in Loop: Header=BB0_2 Depth=1
	s_and_not1_saveexec_b32 s2, s3
	s_cbranch_execz .LBB0_6
; %bb.5:                                ;   in Loop: Header=BB0_2 Depth=1
	v_cvt_f32_u32_e32 v2, s18
	s_sub_i32 s3, 0, s18
	s_delay_alu instid0(VALU_DEP_1) | instskip(SKIP_2) | instid1(VALU_DEP_1)
	v_rcp_iflag_f32_e32 v2, v2
	s_waitcnt_depctr 0xfff
	v_mul_f32_e32 v2, 0x4f7ffffe, v2
	v_cvt_u32_f32_e32 v2, v2
	s_delay_alu instid0(VALU_DEP_1) | instskip(NEXT) | instid1(VALU_DEP_1)
	v_mul_lo_u32 v7, s3, v2
	v_mul_hi_u32 v7, v2, v7
	s_delay_alu instid0(VALU_DEP_1) | instskip(NEXT) | instid1(VALU_DEP_1)
	v_add_nc_u32_e32 v2, v2, v7
	v_mul_hi_u32 v2, v5, v2
	s_delay_alu instid0(VALU_DEP_1) | instskip(SKIP_1) | instid1(VALU_DEP_2)
	v_mul_lo_u32 v7, v2, s18
	v_add_nc_u32_e32 v8, 1, v2
	v_sub_nc_u32_e32 v7, v5, v7
	s_delay_alu instid0(VALU_DEP_1) | instskip(SKIP_1) | instid1(VALU_DEP_2)
	v_subrev_nc_u32_e32 v10, s18, v7
	v_cmp_le_u32_e32 vcc_lo, s18, v7
	v_dual_cndmask_b32 v7, v7, v10 :: v_dual_cndmask_b32 v2, v2, v8
	s_delay_alu instid0(VALU_DEP_1) | instskip(NEXT) | instid1(VALU_DEP_2)
	v_cmp_le_u32_e32 vcc_lo, s18, v7
	v_add_nc_u32_e32 v8, 1, v2
	s_delay_alu instid0(VALU_DEP_1)
	v_dual_cndmask_b32 v7, v2, v8 :: v_dual_mov_b32 v8, v1
.LBB0_6:                                ;   in Loop: Header=BB0_2 Depth=1
	s_or_b32 exec_lo, exec_lo, s2
	s_load_b64 s[2:3], s[12:13], 0x0
	s_delay_alu instid0(VALU_DEP_1) | instskip(NEXT) | instid1(VALU_DEP_2)
	v_mul_lo_u32 v2, v8, s18
	v_mul_lo_u32 v12, v7, s19
	v_mad_u64_u32 v[10:11], null, v7, s18, 0
	s_add_u32 s16, s16, 1
	s_addc_u32 s17, s17, 0
	s_add_u32 s12, s12, 8
	s_addc_u32 s13, s13, 0
	;; [unrolled: 2-line block ×3, first 2 shown]
	s_delay_alu instid0(VALU_DEP_1) | instskip(SKIP_1) | instid1(VALU_DEP_2)
	v_add3_u32 v2, v11, v12, v2
	v_sub_co_u32 v10, vcc_lo, v5, v10
	v_sub_co_ci_u32_e32 v2, vcc_lo, v6, v2, vcc_lo
	s_waitcnt lgkmcnt(0)
	s_delay_alu instid0(VALU_DEP_2) | instskip(NEXT) | instid1(VALU_DEP_2)
	v_mul_lo_u32 v11, s3, v10
	v_mul_lo_u32 v2, s2, v2
	v_mad_u64_u32 v[5:6], null, s2, v10, v[3:4]
	v_cmp_ge_u64_e64 s2, s[16:17], s[6:7]
	s_delay_alu instid0(VALU_DEP_1) | instskip(NEXT) | instid1(VALU_DEP_2)
	s_and_b32 vcc_lo, exec_lo, s2
	v_add3_u32 v4, v11, v6, v2
	s_delay_alu instid0(VALU_DEP_3)
	v_mov_b32_e32 v3, v5
	s_cbranch_vccnz .LBB0_9
; %bb.7:                                ;   in Loop: Header=BB0_2 Depth=1
	v_dual_mov_b32 v5, v7 :: v_dual_mov_b32 v6, v8
	s_branch .LBB0_2
.LBB0_8:
	v_dual_mov_b32 v8, v6 :: v_dual_mov_b32 v7, v5
.LBB0_9:
	s_lshl_b64 s[2:3], s[6:7], 3
	v_and_b32_e32 v64, 3, v0
	s_add_u32 s2, s10, s2
	s_addc_u32 s3, s11, s3
	s_load_b64 s[2:3], s[2:3], 0x0
	s_load_b64 s[0:1], s[0:1], 0x20
	v_or_b32_e32 v69, 4, v64
	v_or_b32_e32 v68, 8, v64
	s_waitcnt lgkmcnt(0)
	v_mul_lo_u32 v5, s2, v8
	v_mul_lo_u32 v6, s3, v7
	v_mad_u64_u32 v[1:2], null, s2, v7, v[3:4]
	v_cmp_gt_u64_e32 vcc_lo, s[0:1], v[7:8]
	v_cmp_le_u64_e64 s0, s[0:1], v[7:8]
	s_delay_alu instid0(VALU_DEP_3) | instskip(NEXT) | instid1(VALU_DEP_2)
	v_add3_u32 v2, v6, v2, v5
	s_and_saveexec_b32 s1, s0
	s_delay_alu instid0(SALU_CYCLE_1)
	s_xor_b32 s0, exec_lo, s1
; %bb.10:
	v_or_b32_e32 v69, 4, v64
	v_or_b32_e32 v68, 8, v64
; %bb.11:
	s_or_saveexec_b32 s1, s0
	v_mul_u32_u24_e32 v0, 53, v9
	v_lshlrev_b64 v[66:67], 4, v[1:2]
	v_lshlrev_b32_e32 v65, 4, v64
	s_delay_alu instid0(VALU_DEP_3)
	v_lshlrev_b32_e32 v0, 4, v0
	s_xor_b32 exec_lo, exec_lo, s1
	s_cbranch_execz .LBB0_13
; %bb.12:
	s_delay_alu instid0(VALU_DEP_3) | instskip(NEXT) | instid1(VALU_DEP_1)
	v_add_co_u32 v1, s0, s8, v66
	v_add_co_ci_u32_e64 v2, s0, s9, v67, s0
	v_add3_u32 v53, 0, v0, v65
	s_delay_alu instid0(VALU_DEP_3) | instskip(NEXT) | instid1(VALU_DEP_1)
	v_add_co_u32 v49, s0, v1, v65
	v_add_co_ci_u32_e64 v50, s0, 0, v2, s0
	s_clause 0xc
	global_load_b128 v[1:4], v[49:50], off
	global_load_b128 v[5:8], v[49:50], off offset:64
	global_load_b128 v[9:12], v[49:50], off offset:128
	;; [unrolled: 1-line block ×12, first 2 shown]
	s_waitcnt vmcnt(12)
	ds_store_b128 v53, v[1:4]
	s_waitcnt vmcnt(11)
	ds_store_b128 v53, v[5:8] offset:64
	s_waitcnt vmcnt(10)
	ds_store_b128 v53, v[9:12] offset:128
	;; [unrolled: 2-line block ×12, first 2 shown]
.LBB0_13:
	s_or_b32 exec_lo, exec_lo, s1
	s_delay_alu instid0(VALU_DEP_1)
	v_add_nc_u32_e32 v73, 0, v0
	v_add3_u32 v74, 0, v65, v0
	s_waitcnt lgkmcnt(0)
	s_barrier
	buffer_gl0_inv
	v_add_nc_u32_e32 v72, v73, v65
	s_mov_b32 s24, 0x42a4c3d2
	s_mov_b32 s25, 0xbfea55e2
	;; [unrolled: 1-line block ×3, first 2 shown]
	ds_load_b128 v[16:19], v74 offset:64
	ds_load_b128 v[8:11], v72
	ds_load_b128 v[20:23], v74 offset:128
	ds_load_b128 v[24:27], v74 offset:192
	s_mov_b32 s18, 0x2ef20147
	s_mov_b32 s22, 0x24c2f84
	s_mov_b32 s27, 0xbfefc445
	s_mov_b32 s19, 0xbfedeba7
	s_mov_b32 s23, 0xbfe5384d
	s_mov_b32 s20, 0x4bc48dbf
	s_mov_b32 s17, 0xbfddbe06
	s_mov_b32 s16, 0x4267c47c
	s_mov_b32 s21, 0xbfcea1e5
	s_mov_b32 s2, 0x1ea71119
	s_mov_b32 s3, 0x3fe22d96
	s_mov_b32 s6, 0xebaa3ed8
	s_mov_b32 s10, 0xb2365da1
	s_mov_b32 s12, 0xd0032e0c
	s_mov_b32 s7, 0x3fbedb7d
	s_mov_b32 s11, 0xbfd6b1d8
	s_mov_b32 s13, 0xbfe7f3cc
	s_mov_b32 s31, 0x3fe5384d
	s_waitcnt lgkmcnt(2)
	v_add_f64 v[0:1], v[8:9], v[16:17]
	v_add_f64 v[2:3], v[10:11], v[18:19]
	s_mov_b32 s29, 0x3fefc445
	s_mov_b32 s30, s22
	;; [unrolled: 1-line block ×13, first 2 shown]
	s_waitcnt lgkmcnt(1)
	s_delay_alu instid0(VALU_DEP_2) | instskip(NEXT) | instid1(VALU_DEP_2)
	v_add_f64 v[28:29], v[0:1], v[20:21]
	v_add_f64 v[30:31], v[2:3], v[22:23]
	ds_load_b128 v[0:3], v74 offset:768
	ds_load_b128 v[12:15], v74 offset:640
	;; [unrolled: 1-line block ×9, first 2 shown]
	s_waitcnt lgkmcnt(0)
	s_barrier
	buffer_gl0_inv
	v_add_f64 v[70:71], v[26:27], -v[14:15]
	v_add_f64 v[56:57], v[18:19], -v[2:3]
	v_add_f64 v[58:59], v[16:17], -v[0:1]
	v_add_f64 v[60:61], v[22:23], -v[6:7]
	v_add_f64 v[62:63], v[20:21], -v[4:5]
	v_add_f64 v[16:17], v[16:17], v[0:1]
	v_add_f64 v[18:19], v[18:19], v[2:3]
	v_add_f64 v[75:76], v[24:25], -v[12:13]
	v_add_f64 v[20:21], v[20:21], v[4:5]
	v_add_f64 v[22:23], v[22:23], v[6:7]
	v_add_f64 v[79:80], v[38:39], v[34:35]
	v_add_f64 v[83:84], v[38:39], -v[34:35]
	v_add_f64 v[95:96], v[50:51], -v[54:55]
	v_add_f64 v[77:78], v[36:37], v[32:33]
	v_add_f64 v[81:82], v[36:37], -v[32:33]
	v_add_f64 v[93:94], v[48:49], -v[52:53]
	v_add_f64 v[28:29], v[28:29], v[24:25]
	v_add_f64 v[30:31], v[30:31], v[26:27]
	v_add_f64 v[24:25], v[24:25], v[12:13]
	v_add_f64 v[26:27], v[26:27], v[14:15]
	v_add_f64 v[85:86], v[40:41], v[44:45]
	v_add_f64 v[87:88], v[42:43], v[46:47]
	v_add_f64 v[89:90], v[40:41], -v[44:45]
	v_add_f64 v[91:92], v[42:43], -v[46:47]
	v_mul_f64 v[147:148], v[70:71], s[26:27]
	v_mul_f64 v[101:102], v[56:57], s[24:25]
	;; [unrolled: 1-line block ×16, first 2 shown]
	v_add_f64 v[28:29], v[28:29], v[36:37]
	v_add_f64 v[30:31], v[30:31], v[38:39]
	;; [unrolled: 1-line block ×3, first 2 shown]
	v_mul_f64 v[127:128], v[62:63], s[20:21]
	v_mul_f64 v[133:134], v[62:63], s[30:31]
	;; [unrolled: 1-line block ×3, first 2 shown]
	v_add_f64 v[36:37], v[48:49], v[52:53]
	s_mov_b32 s17, 0x3fddbe06
	v_mul_f64 v[131:132], v[60:61], s[30:31]
	v_mul_f64 v[137:138], v[62:63], s[28:29]
	;; [unrolled: 1-line block ×15, first 2 shown]
	v_fma_f64 v[193:194], v[16:17], s[2:3], -v[101:102]
	v_fma_f64 v[195:196], v[18:19], s[2:3], v[103:104]
	v_fma_f64 v[197:198], v[16:17], s[6:7], -v[105:106]
	v_fma_f64 v[199:200], v[18:19], s[6:7], v[109:110]
	;; [unrolled: 2-line block ×6, first 2 shown]
	v_fma_f64 v[97:98], v[16:17], s[0:1], v[97:98]
	v_fma_f64 v[99:100], v[18:19], s[0:1], -v[99:100]
	v_fma_f64 v[105:106], v[16:17], s[6:7], v[105:106]
	v_add_f64 v[28:29], v[28:29], v[40:41]
	v_add_f64 v[30:31], v[30:31], v[42:43]
	v_fma_f64 v[109:110], v[18:19], s[6:7], -v[109:110]
	v_fma_f64 v[111:112], v[16:17], s[12:13], v[111:112]
	v_fma_f64 v[115:116], v[18:19], s[12:13], -v[115:116]
	v_mul_f64 v[40:41], v[75:76], s[24:25]
	v_mul_f64 v[42:43], v[75:76], s[22:23]
	v_mul_f64 v[75:76], v[75:76], s[16:17]
	v_fma_f64 v[211:212], v[20:21], s[14:15], -v[125:126]
	v_fma_f64 v[213:214], v[22:23], s[14:15], v[127:128]
	v_fma_f64 v[219:220], v[22:23], s[12:13], v[133:134]
	v_fma_f64 v[221:222], v[20:21], s[6:7], -v[135:136]
	v_fma_f64 v[217:218], v[20:21], s[12:13], -v[131:132]
	v_fma_f64 v[223:224], v[22:23], s[6:7], v[137:138]
	v_fma_f64 v[233:234], v[22:23], s[0:1], v[62:63]
	v_fma_f64 v[229:230], v[20:21], s[2:3], -v[143:144]
	v_fma_f64 v[143:144], v[20:21], s[2:3], v[143:144]
	v_fma_f64 v[125:126], v[20:21], s[14:15], v[125:126]
	;; [unrolled: 1-line block ×5, first 2 shown]
	v_fma_f64 v[145:146], v[22:23], s[2:3], -v[145:146]
	v_fma_f64 v[127:128], v[22:23], s[14:15], -v[127:128]
	v_add_f64 v[193:194], v[8:9], v[193:194]
	v_add_f64 v[195:196], v[10:11], v[195:196]
	;; [unrolled: 1-line block ×5, first 2 shown]
	v_fma_f64 v[133:134], v[22:23], s[12:13], -v[133:134]
	v_fma_f64 v[137:138], v[22:23], s[6:7], -v[137:138]
	v_add_f64 v[203:204], v[10:11], v[203:204]
	v_add_f64 v[189:190], v[8:9], v[189:190]
	v_add_f64 v[191:192], v[10:11], v[191:192]
	v_add_f64 v[205:206], v[8:9], v[205:206]
	v_add_f64 v[207:208], v[10:11], v[207:208]
	v_add_f64 v[97:98], v[8:9], v[97:98]
	v_add_f64 v[99:100], v[10:11], v[99:100]
	v_add_f64 v[101:102], v[8:9], v[101:102]
	v_add_f64 v[28:29], v[28:29], v[48:49]
	v_add_f64 v[30:31], v[30:31], v[50:51]
	v_fma_f64 v[50:51], v[18:19], s[10:11], v[113:114]
	v_fma_f64 v[48:49], v[16:17], s[10:11], -v[107:108]
	v_fma_f64 v[107:108], v[16:17], s[10:11], v[107:108]
	v_fma_f64 v[113:114], v[18:19], s[10:11], -v[113:114]
	;; [unrolled: 2-line block ×3, first 2 shown]
	v_fma_f64 v[56:57], v[20:21], s[10:11], -v[117:118]
	v_fma_f64 v[58:59], v[22:23], s[10:11], v[119:120]
	v_fma_f64 v[117:118], v[20:21], s[10:11], v[117:118]
	v_fma_f64 v[119:120], v[22:23], s[10:11], -v[119:120]
	v_add_f64 v[103:104], v[10:11], v[103:104]
	v_add_f64 v[105:106], v[8:9], v[105:106]
	;; [unrolled: 1-line block ×5, first 2 shown]
	v_fma_f64 v[22:23], v[22:23], s[0:1], -v[62:63]
	v_mul_f64 v[165:166], v[81:82], s[30:31]
	v_fma_f64 v[209:210], v[24:25], s[14:15], -v[121:122]
	v_mul_f64 v[153:154], v[83:84], s[18:19]
	v_mul_f64 v[157:158], v[83:84], s[26:27]
	;; [unrolled: 1-line block ×8, first 2 shown]
	v_fma_f64 v[215:216], v[24:25], s[10:11], -v[129:130]
	v_fma_f64 v[225:226], v[24:25], s[2:3], -v[139:140]
	;; [unrolled: 1-line block ×3, first 2 shown]
	v_fma_f64 v[121:122], v[24:25], s[14:15], v[121:122]
	v_fma_f64 v[129:130], v[24:25], s[10:11], v[129:130]
	;; [unrolled: 1-line block ×4, first 2 shown]
	v_fma_f64 v[62:63], v[24:25], s[0:1], -v[70:71]
	v_add_f64 v[197:198], v[211:212], v[197:198]
	v_add_f64 v[199:200], v[213:214], v[199:200]
	;; [unrolled: 1-line block ×6, first 2 shown]
	v_fma_f64 v[52:53], v[24:25], s[6:7], -v[147:148]
	v_fma_f64 v[54:55], v[24:25], s[6:7], v[147:148]
	v_fma_f64 v[147:148], v[20:21], s[0:1], -v[60:61]
	v_add_f64 v[107:108], v[8:9], v[107:108]
	v_add_f64 v[113:114], v[10:11], v[113:114]
	v_add_f64 v[8:9], v[8:9], v[16:17]
	v_add_f64 v[10:11], v[10:11], v[18:19]
	v_fma_f64 v[20:21], v[20:21], s[0:1], v[60:61]
	v_fma_f64 v[16:17], v[26:27], s[6:7], v[149:150]
	v_fma_f64 v[18:19], v[26:27], s[6:7], -v[149:150]
	v_fma_f64 v[149:150], v[26:27], s[14:15], v[123:124]
	v_add_f64 v[56:57], v[56:57], v[193:194]
	v_add_f64 v[58:59], v[58:59], v[195:196]
	v_fma_f64 v[24:25], v[24:25], s[0:1], v[70:71]
	v_fma_f64 v[70:71], v[26:27], s[0:1], v[75:76]
	v_add_f64 v[201:202], v[221:222], v[201:202]
	v_mul_f64 v[83:84], v[83:84], s[16:17]
	v_mul_f64 v[81:82], v[81:82], s[16:17]
	v_add_f64 v[203:204], v[223:224], v[203:204]
	v_fma_f64 v[60:61], v[26:27], s[12:13], v[42:43]
	v_add_f64 v[207:208], v[233:234], v[207:208]
	v_fma_f64 v[42:43], v[26:27], s[12:13], -v[42:43]
	v_add_f64 v[105:106], v[125:126], v[105:106]
	v_add_f64 v[111:112], v[135:136], v[111:112]
	;; [unrolled: 1-line block ×3, first 2 shown]
	v_fma_f64 v[123:124], v[26:27], s[14:15], -v[123:124]
	v_add_f64 v[97:98], v[143:144], v[97:98]
	v_add_f64 v[101:102], v[117:118], v[101:102]
	;; [unrolled: 1-line block ×7, first 2 shown]
	v_mul_f64 v[175:176], v[91:92], s[28:29]
	v_add_f64 v[28:29], v[28:29], v[44:45]
	v_fma_f64 v[44:45], v[26:27], s[10:11], v[151:152]
	v_add_f64 v[50:51], v[219:220], v[50:51]
	v_add_f64 v[48:49], v[217:218], v[48:49]
	;; [unrolled: 1-line block ×3, first 2 shown]
	v_fma_f64 v[46:47], v[26:27], s[10:11], -v[151:152]
	v_fma_f64 v[151:152], v[26:27], s[2:3], v[40:41]
	v_add_f64 v[147:148], v[147:148], v[205:206]
	v_fma_f64 v[40:41], v[26:27], s[2:3], -v[40:41]
	v_fma_f64 v[26:27], v[26:27], s[0:1], -v[75:76]
	v_add_f64 v[10:11], v[22:23], v[10:11]
	v_add_f64 v[8:9], v[20:21], v[8:9]
	;; [unrolled: 1-line block ×4, first 2 shown]
	v_mul_f64 v[183:184], v[89:90], s[28:29]
	v_fma_f64 v[143:144], v[77:78], s[12:13], -v[155:156]
	v_fma_f64 v[127:128], v[79:80], s[12:13], v[165:166]
	v_add_f64 v[56:57], v[209:210], v[56:57]
	v_add_f64 v[58:59], v[149:150], v[58:59]
	v_mul_f64 v[177:178], v[91:92], s[24:25]
	v_mul_f64 v[185:186], v[89:90], s[24:25]
	v_add_f64 v[197:198], v[215:216], v[197:198]
	v_add_f64 v[201:202], v[225:226], v[201:202]
	v_fma_f64 v[225:226], v[79:80], s[0:1], v[81:82]
	v_mul_f64 v[179:180], v[91:92], s[38:39]
	v_mul_f64 v[187:188], v[89:90], s[38:39]
	v_fma_f64 v[145:146], v[77:78], s[6:7], -v[157:158]
	v_fma_f64 v[131:132], v[79:80], s[6:7], v[167:168]
	v_mul_f64 v[173:174], v[91:92], s[22:23]
	v_mul_f64 v[181:182], v[91:92], s[18:19]
	;; [unrolled: 1-line block ×6, first 2 shown]
	v_fma_f64 v[117:118], v[77:78], s[14:15], -v[159:160]
	v_fma_f64 v[133:134], v[79:80], s[14:15], v[169:170]
	v_fma_f64 v[119:120], v[77:78], s[2:3], -v[161:162]
	v_fma_f64 v[135:136], v[79:80], s[2:3], v[171:172]
	v_add_f64 v[60:61], v[60:61], v[207:208]
	v_add_f64 v[44:45], v[44:45], v[199:200]
	;; [unrolled: 1-line block ×3, first 2 shown]
	v_fma_f64 v[70:71], v[77:78], s[0:1], -v[83:84]
	v_add_f64 v[48:49], v[62:63], v[48:49]
	v_fma_f64 v[231:232], v[77:78], s[10:11], -v[153:154]
	v_add_f64 v[151:152], v[151:152], v[203:204]
	v_add_f64 v[147:148], v[227:228], v[147:148]
	v_fma_f64 v[153:154], v[77:78], s[10:11], v[153:154]
	v_fma_f64 v[155:156], v[77:78], s[12:13], v[155:156]
	;; [unrolled: 1-line block ×6, first 2 shown]
	v_fma_f64 v[163:164], v[79:80], s[10:11], -v[163:164]
	v_fma_f64 v[165:166], v[79:80], s[12:13], -v[165:166]
	;; [unrolled: 1-line block ×5, first 2 shown]
	v_fma_f64 v[77:78], v[77:78], s[0:1], v[83:84]
	v_fma_f64 v[79:80], v[79:80], s[0:1], -v[81:82]
	v_add_f64 v[81:82], v[129:130], v[105:106]
	v_add_f64 v[105:106], v[139:140], v[111:112]
	;; [unrolled: 1-line block ×16, first 2 shown]
	v_mul_f64 v[195:196], v[95:96], s[22:23]
	v_mul_f64 v[211:212], v[93:94], s[22:23]
	;; [unrolled: 1-line block ×12, first 2 shown]
	v_fma_f64 v[20:21], v[85:86], s[6:7], -v[175:176]
	v_fma_f64 v[215:216], v[87:88], s[6:7], v[183:184]
	v_add_f64 v[56:57], v[143:144], v[56:57]
	v_add_f64 v[58:59], v[127:128], v[58:59]
	v_fma_f64 v[22:23], v[85:86], s[2:3], -v[177:178]
	v_fma_f64 v[199:200], v[87:88], s[2:3], v[185:186]
	v_add_f64 v[70:71], v[70:71], v[197:198]
	v_add_f64 v[44:45], v[225:226], v[44:45]
	;; [unrolled: 4-line block ×5, first 2 shown]
	v_fma_f64 v[137:138], v[85:86], s[12:13], -v[173:174]
	v_fma_f64 v[173:174], v[85:86], s[12:13], v[173:174]
	v_fma_f64 v[175:176], v[85:86], s[6:7], v[175:176]
	;; [unrolled: 1-line block ×5, first 2 shown]
	v_fma_f64 v[75:76], v[87:88], s[10:11], -v[75:76]
	v_fma_f64 v[85:86], v[85:86], s[0:1], v[91:92]
	v_add_f64 v[77:78], v[77:78], v[81:82]
	v_add_f64 v[81:82], v[159:160], v[105:106]
	;; [unrolled: 1-line block ×4, first 2 shown]
	v_fma_f64 v[227:228], v[87:88], s[12:13], v[193:194]
	v_fma_f64 v[193:194], v[87:88], s[12:13], -v[193:194]
	v_fma_f64 v[32:33], v[87:88], s[6:7], -v[183:184]
	;; [unrolled: 1-line block ×5, first 2 shown]
	v_add_f64 v[40:41], v[169:170], v[40:41]
	v_add_f64 v[12:13], v[28:29], v[12:13]
	v_add_f64 v[54:55], v[153:154], v[54:55]
	v_add_f64 v[91:92], v[155:156], v[101:102]
	v_add_f64 v[24:25], v[157:158], v[24:25]
	v_add_f64 v[26:27], v[167:168], v[26:27]
	v_add_f64 v[42:43], v[79:80], v[42:43]
	v_add_f64 v[46:47], v[165:166], v[46:47]
	v_add_f64 v[18:19], v[163:164], v[18:19]
	v_add_f64 v[52:53], v[231:232], v[52:53]
	v_add_f64 v[16:17], v[125:126], v[16:17]
	v_add_f64 v[14:15], v[30:31], v[14:15]
	v_fma_f64 v[30:31], v[36:37], s[0:1], -v[95:96]
	v_fma_f64 v[79:80], v[38:39], s[0:1], v[93:94]
	v_add_f64 v[20:21], v[20:21], v[56:57]
	v_add_f64 v[56:57], v[215:216], v[58:59]
	v_fma_f64 v[187:188], v[36:37], s[12:13], -v[195:196]
	v_fma_f64 v[83:84], v[38:39], s[12:13], v[211:212]
	v_add_f64 v[22:23], v[22:23], v[70:71]
	v_add_f64 v[44:45], v[199:200], v[44:45]
	;; [unrolled: 4-line block ×5, first 2 shown]
	v_fma_f64 v[99:100], v[36:37], s[6:7], v[223:224]
	v_fma_f64 v[109:110], v[38:39], s[6:7], -v[205:206]
	v_add_f64 v[81:82], v[85:86], v[81:82]
	v_add_f64 v[85:86], v[181:182], v[8:9]
	;; [unrolled: 1-line block ×3, first 2 shown]
	v_fma_f64 v[89:90], v[36:37], s[10:11], v[219:220]
	v_fma_f64 v[107:108], v[38:39], s[10:11], -v[221:222]
	v_add_f64 v[87:88], v[87:88], v[40:41]
	v_fma_f64 v[117:118], v[36:37], s[14:15], -v[233:234]
	v_fma_f64 v[119:120], v[36:37], s[14:15], v[233:234]
	v_fma_f64 v[123:124], v[36:37], s[12:13], v[195:196]
	;; [unrolled: 1-line block ×3, first 2 shown]
	v_add_f64 v[70:71], v[12:13], v[4:5]
	v_fma_f64 v[36:37], v[36:37], s[0:1], v[95:96]
	v_fma_f64 v[95:96], v[38:39], s[14:15], v[229:230]
	v_fma_f64 v[101:102], v[38:39], s[14:15], -v[229:230]
	v_fma_f64 v[103:104], v[38:39], s[12:13], -v[211:212]
	;; [unrolled: 1-line block ×3, first 2 shown]
	v_add_f64 v[4:5], v[173:174], v[54:55]
	v_add_f64 v[54:55], v[175:176], v[91:92]
	v_fma_f64 v[91:92], v[38:39], s[0:1], -v[93:94]
	v_add_f64 v[38:39], v[177:178], v[77:78]
	v_add_f64 v[77:78], v[179:180], v[24:25]
	;; [unrolled: 1-line block ×19, first 2 shown]
	v_cmp_ne_u32_e64 s0, 0, v64
	v_add_f64 v[44:45], v[99:100], v[85:86]
	v_add_f64 v[46:47], v[109:110], v[75:76]
	;; [unrolled: 1-line block ×3, first 2 shown]
	v_lshl_add_u32 v76, v69, 4, v73
	v_add_f64 v[42:43], v[107:108], v[87:88]
	v_lshl_add_u32 v75, v68, 4, v73
	v_cmp_eq_u32_e64 s1, 0, v64
	v_add_f64 v[0:1], v[70:71], v[0:1]
	v_add_f64 v[4:5], v[119:120], v[4:5]
	;; [unrolled: 1-line block ×12, first 2 shown]
	v_mad_u32_u24 v52, 0xd0, v64, v73
	ds_store_b128 v52, v[8:11] offset:32
	ds_store_b128 v52, v[12:15] offset:48
	;; [unrolled: 1-line block ×12, first 2 shown]
	ds_store_b128 v52, v[0:3]
	s_waitcnt lgkmcnt(0)
	s_barrier
	buffer_gl0_inv
	ds_load_b128 v[20:23], v72
	ds_load_b128 v[56:59], v74 offset:208
	ds_load_b128 v[44:47], v74 offset:416
	;; [unrolled: 1-line block ×3, first 2 shown]
	ds_load_b128 v[24:27], v76
	ds_load_b128 v[16:19], v75
	ds_load_b128 v[48:51], v74 offset:272
	ds_load_b128 v[32:35], v74 offset:336
	;; [unrolled: 1-line block ×6, first 2 shown]
                                        ; implicit-def: $vgpr2_vgpr3
                                        ; implicit-def: $vgpr10_vgpr11
                                        ; implicit-def: $vgpr14_vgpr15
	s_and_saveexec_b32 s2, s1
	s_cbranch_execz .LBB0_15
; %bb.14:
	ds_load_b128 v[4:7], v73 offset:192
	ds_load_b128 v[0:3], v73 offset:400
	;; [unrolled: 1-line block ×4, first 2 shown]
.LBB0_15:
	s_or_b32 exec_lo, exec_lo, s2
	v_mul_i32_i24_e32 v70, 3, v69
	v_mul_u32_u24_e32 v77, 3, v64
	s_delay_alu instid0(VALU_DEP_1) | instskip(NEXT) | instid1(VALU_DEP_1)
	v_dual_mov_b32 v71, 0 :: v_dual_lshlrev_b32 v86, 4, v77
	v_lshlrev_b64 v[78:79], 4, v[70:71]
	v_mul_i32_i24_e32 v70, 3, v68
	s_delay_alu instid0(VALU_DEP_1) | instskip(NEXT) | instid1(VALU_DEP_3)
	v_lshlrev_b64 v[94:95], 4, v[70:71]
	v_add_co_u32 v98, s2, s4, v78
	s_delay_alu instid0(VALU_DEP_1)
	v_add_co_ci_u32_e64 v99, s2, s5, v79, s2
	s_clause 0x3
	global_load_b128 v[78:81], v86, s[4:5]
	global_load_b128 v[82:85], v86, s[4:5] offset:16
	global_load_b128 v[86:89], v86, s[4:5] offset:32
	global_load_b128 v[90:93], v[98:99], off
	v_add_co_u32 v110, s2, s4, v94
	s_delay_alu instid0(VALU_DEP_1)
	v_add_co_ci_u32_e64 v111, s2, s5, v95, s2
	s_clause 0x4
	global_load_b128 v[94:97], v[98:99], off offset:16
	global_load_b128 v[98:101], v[98:99], off offset:32
	global_load_b128 v[102:105], v[110:111], off
	global_load_b128 v[106:109], v[110:111], off offset:16
	global_load_b128 v[110:113], v[110:111], off offset:32
	s_waitcnt vmcnt(0) lgkmcnt(0)
	s_barrier
	buffer_gl0_inv
	v_mul_f64 v[114:115], v[58:59], v[80:81]
	v_mul_f64 v[80:81], v[56:57], v[80:81]
	;; [unrolled: 1-line block ×18, first 2 shown]
	v_fma_f64 v[56:57], v[56:57], v[78:79], -v[114:115]
	v_fma_f64 v[58:59], v[58:59], v[78:79], v[80:81]
	v_fma_f64 v[44:45], v[44:45], v[82:83], -v[116:117]
	v_fma_f64 v[46:47], v[46:47], v[82:83], v[84:85]
	;; [unrolled: 2-line block ×9, first 2 shown]
	v_add_f64 v[44:45], v[20:21], -v[44:45]
	v_add_f64 v[46:47], v[22:23], -v[46:47]
	;; [unrolled: 1-line block ×12, first 2 shown]
	v_fma_f64 v[82:83], v[20:21], 2.0, -v[44:45]
	v_fma_f64 v[84:85], v[22:23], 2.0, -v[46:47]
	;; [unrolled: 1-line block ×8, first 2 shown]
	v_add_f64 v[20:21], v[78:79], -v[30:31]
	v_fma_f64 v[86:87], v[16:17], 2.0, -v[52:53]
	v_fma_f64 v[88:89], v[18:19], 2.0, -v[54:55]
	;; [unrolled: 1-line block ×4, first 2 shown]
	v_add_f64 v[16:17], v[44:45], -v[62:63]
	v_add_f64 v[18:19], v[46:47], v[60:61]
	v_add_f64 v[30:31], v[54:55], v[40:41]
	v_add_f64 v[24:25], v[82:83], -v[22:23]
	v_add_f64 v[26:27], v[84:85], -v[38:39]
	v_add_f64 v[22:23], v[80:81], v[28:29]
	v_add_f64 v[28:29], v[52:53], -v[36:37]
	v_add_f64 v[32:33], v[56:57], -v[42:43]
	;; [unrolled: 1-line block ×5, first 2 shown]
	v_fma_f64 v[40:41], v[44:45], 2.0, -v[16:17]
	v_fma_f64 v[42:43], v[46:47], 2.0, -v[18:19]
	;; [unrolled: 1-line block ×12, first 2 shown]
	ds_store_b128 v74, v[24:27] offset:416
	ds_store_b128 v74, v[16:19] offset:624
	ds_store_b128 v74, v[48:51]
	ds_store_b128 v74, v[40:43] offset:208
	ds_store_b128 v76, v[32:35] offset:416
	;; [unrolled: 1-line block ×3, first 2 shown]
	ds_store_b128 v76, v[56:59]
	ds_store_b128 v76, v[44:47] offset:208
	ds_store_b128 v75, v[60:63]
	ds_store_b128 v75, v[52:55] offset:208
	ds_store_b128 v75, v[36:39] offset:416
	ds_store_b128 v75, v[28:31] offset:624
	s_and_saveexec_b32 s2, s1
	s_cbranch_execz .LBB0_17
; %bb.16:
	v_add_nc_u32_e32 v16, -3, v77
	s_delay_alu instid0(VALU_DEP_1) | instskip(NEXT) | instid1(VALU_DEP_1)
	v_cndmask_b32_e64 v70, v16, 36, s1
	v_lshlrev_b64 v[16:17], 4, v[70:71]
	s_delay_alu instid0(VALU_DEP_1) | instskip(NEXT) | instid1(VALU_DEP_1)
	v_add_co_u32 v24, s1, s4, v16
	v_add_co_ci_u32_e64 v25, s1, s5, v17, s1
	s_clause 0x2
	global_load_b128 v[16:19], v[24:25], off offset:16
	global_load_b128 v[20:23], v[24:25], off
	global_load_b128 v[24:27], v[24:25], off offset:32
	s_waitcnt vmcnt(2)
	v_mul_f64 v[28:29], v[8:9], v[18:19]
	s_waitcnt vmcnt(1)
	v_mul_f64 v[30:31], v[2:3], v[22:23]
	v_mul_f64 v[22:23], v[0:1], v[22:23]
	s_waitcnt vmcnt(0)
	v_mul_f64 v[32:33], v[12:13], v[26:27]
	v_mul_f64 v[18:19], v[10:11], v[18:19]
	;; [unrolled: 1-line block ×3, first 2 shown]
	v_fma_f64 v[10:11], v[10:11], v[16:17], v[28:29]
	v_fma_f64 v[0:1], v[0:1], v[20:21], -v[30:31]
	v_fma_f64 v[2:3], v[2:3], v[20:21], v[22:23]
	v_fma_f64 v[14:15], v[14:15], v[24:25], v[32:33]
	v_fma_f64 v[8:9], v[8:9], v[16:17], -v[18:19]
	v_fma_f64 v[12:13], v[12:13], v[24:25], -v[26:27]
	v_add_f64 v[10:11], v[6:7], -v[10:11]
	s_delay_alu instid0(VALU_DEP_4) | instskip(NEXT) | instid1(VALU_DEP_4)
	v_add_f64 v[14:15], v[2:3], -v[14:15]
	v_add_f64 v[8:9], v[4:5], -v[8:9]
	s_delay_alu instid0(VALU_DEP_4) | instskip(NEXT) | instid1(VALU_DEP_4)
	v_add_f64 v[12:13], v[0:1], -v[12:13]
	v_fma_f64 v[16:17], v[6:7], 2.0, -v[10:11]
	s_delay_alu instid0(VALU_DEP_4) | instskip(NEXT) | instid1(VALU_DEP_4)
	v_fma_f64 v[6:7], v[2:3], 2.0, -v[14:15]
	v_fma_f64 v[18:19], v[4:5], 2.0, -v[8:9]
	s_delay_alu instid0(VALU_DEP_4) | instskip(SKIP_1) | instid1(VALU_DEP_4)
	v_fma_f64 v[0:1], v[0:1], 2.0, -v[12:13]
	v_add_f64 v[2:3], v[10:11], v[12:13]
	v_add_f64 v[6:7], v[16:17], -v[6:7]
	s_delay_alu instid0(VALU_DEP_3) | instskip(SKIP_1) | instid1(VALU_DEP_4)
	v_add_f64 v[4:5], v[18:19], -v[0:1]
	v_add_f64 v[0:1], v[8:9], -v[14:15]
	v_fma_f64 v[10:11], v[10:11], 2.0, -v[2:3]
	s_delay_alu instid0(VALU_DEP_4) | instskip(NEXT) | instid1(VALU_DEP_4)
	v_fma_f64 v[14:15], v[16:17], 2.0, -v[6:7]
	v_fma_f64 v[12:13], v[18:19], 2.0, -v[4:5]
	s_delay_alu instid0(VALU_DEP_4)
	v_fma_f64 v[8:9], v[8:9], 2.0, -v[0:1]
	ds_store_b128 v73, v[12:15] offset:192
	ds_store_b128 v73, v[8:11] offset:400
	;; [unrolled: 1-line block ×4, first 2 shown]
.LBB0_17:
	s_or_b32 exec_lo, exec_lo, s2
	s_waitcnt lgkmcnt(0)
	s_barrier
	buffer_gl0_inv
	ds_load_b128 v[4:7], v72
	v_sub_nc_u32_e32 v12, v73, v65
                                        ; implicit-def: $vgpr2_vgpr3
                                        ; implicit-def: $vgpr10_vgpr11
                                        ; implicit-def: $vgpr8_vgpr9
	s_and_saveexec_b32 s1, s0
	s_delay_alu instid0(SALU_CYCLE_1)
	s_xor_b32 s0, exec_lo, s1
	s_cbranch_execz .LBB0_19
; %bb.18:
	global_load_b128 v[8:11], v65, s[4:5] offset:624
	ds_load_b128 v[0:3], v12 offset:832
	v_mov_b32_e32 v65, 0
                                        ; implicit-def: $vgpr73
	s_waitcnt lgkmcnt(0)
	v_add_f64 v[13:14], v[4:5], -v[0:1]
	v_add_f64 v[15:16], v[6:7], v[2:3]
	v_add_f64 v[2:3], v[6:7], -v[2:3]
	v_add_f64 v[0:1], v[4:5], v[0:1]
	s_delay_alu instid0(VALU_DEP_4) | instskip(NEXT) | instid1(VALU_DEP_4)
	v_mul_f64 v[6:7], v[13:14], 0.5
	v_mul_f64 v[4:5], v[15:16], 0.5
	s_delay_alu instid0(VALU_DEP_4) | instskip(SKIP_1) | instid1(VALU_DEP_3)
	v_mul_f64 v[2:3], v[2:3], 0.5
	s_waitcnt vmcnt(0)
	v_mul_f64 v[13:14], v[6:7], v[10:11]
	s_delay_alu instid0(VALU_DEP_2) | instskip(SKIP_1) | instid1(VALU_DEP_3)
	v_fma_f64 v[15:16], v[4:5], v[10:11], v[2:3]
	v_fma_f64 v[2:3], v[4:5], v[10:11], -v[2:3]
	v_fma_f64 v[17:18], v[0:1], 0.5, v[13:14]
	v_fma_f64 v[0:1], v[0:1], 0.5, -v[13:14]
	s_delay_alu instid0(VALU_DEP_4) | instskip(NEXT) | instid1(VALU_DEP_4)
	v_fma_f64 v[10:11], -v[8:9], v[6:7], v[15:16]
	v_fma_f64 v[2:3], -v[8:9], v[6:7], v[2:3]
	s_delay_alu instid0(VALU_DEP_4) | instskip(NEXT) | instid1(VALU_DEP_4)
	v_fma_f64 v[13:14], v[4:5], v[8:9], v[17:18]
	v_fma_f64 v[0:1], -v[4:5], v[8:9], v[0:1]
	v_dual_mov_b32 v8, v64 :: v_dual_mov_b32 v9, v65
                                        ; implicit-def: $vgpr4_vgpr5
	ds_store_b64 v72, v[13:14]
.LBB0_19:
	s_and_not1_saveexec_b32 s0, s0
	s_cbranch_execz .LBB0_21
; %bb.20:
	s_waitcnt lgkmcnt(0)
	v_add_f64 v[13:14], v[4:5], v[6:7]
	v_add_f64 v[0:1], v[4:5], -v[6:7]
	ds_load_b64 v[4:5], v73 offset:424
	v_mov_b32_e32 v10, 0
	v_dual_mov_b32 v11, 0 :: v_dual_mov_b32 v8, 0
	s_delay_alu instid0(VALU_DEP_2) | instskip(NEXT) | instid1(VALU_DEP_2)
	v_dual_mov_b32 v9, 0 :: v_dual_mov_b32 v2, v10
	v_mov_b32_e32 v3, v11
	s_waitcnt lgkmcnt(0)
	v_xor_b32_e32 v5, 0x80000000, v5
	ds_store_b64 v72, v[13:14]
	ds_store_b64 v73, v[4:5] offset:424
.LBB0_21:
	s_or_b32 exec_lo, exec_lo, s0
	v_mov_b32_e32 v70, 0
	s_waitcnt lgkmcnt(0)
	s_delay_alu instid0(VALU_DEP_1) | instskip(SKIP_1) | instid1(VALU_DEP_1)
	v_lshlrev_b64 v[4:5], 4, v[69:70]
	v_mov_b32_e32 v69, v70
	v_lshlrev_b64 v[13:14], 4, v[68:69]
	s_delay_alu instid0(VALU_DEP_3) | instskip(NEXT) | instid1(VALU_DEP_1)
	v_add_co_u32 v4, s0, s4, v4
	v_add_co_ci_u32_e64 v5, s0, s5, v5, s0
	s_delay_alu instid0(VALU_DEP_3)
	v_add_co_u32 v13, s0, s4, v13
	global_load_b128 v[4:7], v[4:5], off offset:624
	v_add_co_ci_u32_e64 v14, s0, s5, v14, s0
	s_add_u32 s0, s4, 0x270
	s_addc_u32 s1, s5, 0
	global_load_b128 v[13:16], v[13:14], off offset:624
	ds_store_b64 v72, v[10:11] offset:8
	ds_store_b128 v12, v[0:3] offset:832
	ds_load_b128 v[17:20], v76
	ds_load_b128 v[21:24], v12 offset:768
	s_waitcnt lgkmcnt(0)
	v_add_f64 v[0:1], v[17:18], -v[21:22]
	v_add_f64 v[25:26], v[19:20], v[23:24]
	v_add_f64 v[19:20], v[19:20], -v[23:24]
	v_add_f64 v[17:18], v[17:18], v[21:22]
	s_delay_alu instid0(VALU_DEP_4) | instskip(NEXT) | instid1(VALU_DEP_4)
	v_mul_f64 v[23:24], v[0:1], 0.5
	v_mul_f64 v[25:26], v[25:26], 0.5
	s_delay_alu instid0(VALU_DEP_4) | instskip(SKIP_1) | instid1(VALU_DEP_1)
	v_mul_f64 v[19:20], v[19:20], 0.5
	v_lshlrev_b64 v[0:1], 4, v[8:9]
	v_add_co_u32 v2, s0, s0, v0
	s_delay_alu instid0(VALU_DEP_1)
	v_add_co_ci_u32_e64 v3, s0, s1, v1, s0
	s_mov_b32 s1, exec_lo
	global_load_b128 v[8:11], v[2:3], off offset:320
	s_waitcnt vmcnt(2)
	v_mul_f64 v[21:22], v[23:24], v[6:7]
	v_fma_f64 v[27:28], v[25:26], v[6:7], v[19:20]
	v_fma_f64 v[6:7], v[25:26], v[6:7], -v[19:20]
	s_delay_alu instid0(VALU_DEP_3) | instskip(SKIP_1) | instid1(VALU_DEP_4)
	v_fma_f64 v[29:30], v[17:18], 0.5, v[21:22]
	v_fma_f64 v[21:22], v[17:18], 0.5, -v[21:22]
	v_fma_f64 v[19:20], -v[4:5], v[23:24], v[27:28]
	s_delay_alu instid0(VALU_DEP_4) | instskip(NEXT) | instid1(VALU_DEP_4)
	v_fma_f64 v[6:7], -v[4:5], v[23:24], v[6:7]
	v_fma_f64 v[17:18], v[25:26], v[4:5], v[29:30]
	s_delay_alu instid0(VALU_DEP_4)
	v_fma_f64 v[4:5], -v[25:26], v[4:5], v[21:22]
	global_load_b128 v[21:24], v[2:3], off offset:192
	ds_store_b128 v76, v[17:20]
	ds_store_b128 v12, v[4:7] offset:768
	ds_load_b128 v[4:7], v75
	ds_load_b128 v[17:20], v12 offset:704
	s_waitcnt lgkmcnt(0)
	v_add_f64 v[25:26], v[4:5], -v[17:18]
	v_add_f64 v[27:28], v[6:7], v[19:20]
	v_add_f64 v[6:7], v[6:7], -v[19:20]
	v_add_f64 v[4:5], v[4:5], v[17:18]
	s_delay_alu instid0(VALU_DEP_4) | instskip(NEXT) | instid1(VALU_DEP_4)
	v_mul_f64 v[19:20], v[25:26], 0.5
	v_mul_f64 v[25:26], v[27:28], 0.5
	s_delay_alu instid0(VALU_DEP_4) | instskip(SKIP_1) | instid1(VALU_DEP_3)
	v_mul_f64 v[6:7], v[6:7], 0.5
	s_waitcnt vmcnt(2)
	v_mul_f64 v[17:18], v[19:20], v[15:16]
	s_delay_alu instid0(VALU_DEP_2) | instskip(SKIP_1) | instid1(VALU_DEP_3)
	v_fma_f64 v[27:28], v[25:26], v[15:16], v[6:7]
	v_fma_f64 v[15:16], v[25:26], v[15:16], -v[6:7]
	v_fma_f64 v[29:30], v[4:5], 0.5, v[17:18]
	v_fma_f64 v[17:18], v[4:5], 0.5, -v[17:18]
	s_delay_alu instid0(VALU_DEP_4) | instskip(NEXT) | instid1(VALU_DEP_4)
	v_fma_f64 v[6:7], -v[13:14], v[19:20], v[27:28]
	v_fma_f64 v[15:16], -v[13:14], v[19:20], v[15:16]
	s_delay_alu instid0(VALU_DEP_4) | instskip(NEXT) | instid1(VALU_DEP_4)
	v_fma_f64 v[4:5], v[25:26], v[13:14], v[29:30]
	v_fma_f64 v[13:14], -v[25:26], v[13:14], v[17:18]
	global_load_b128 v[17:20], v[2:3], off offset:256
	ds_store_b128 v75, v[4:7]
	ds_store_b128 v12, v[13:16] offset:704
	ds_load_b128 v[4:7], v72 offset:192
	ds_load_b128 v[13:16], v12 offset:640
	s_waitcnt lgkmcnt(0)
	v_add_f64 v[25:26], v[4:5], -v[13:14]
	v_add_f64 v[27:28], v[6:7], v[15:16]
	v_add_f64 v[6:7], v[6:7], -v[15:16]
	v_add_f64 v[4:5], v[4:5], v[13:14]
	s_delay_alu instid0(VALU_DEP_4) | instskip(NEXT) | instid1(VALU_DEP_4)
	v_mul_f64 v[15:16], v[25:26], 0.5
	v_mul_f64 v[25:26], v[27:28], 0.5
	s_delay_alu instid0(VALU_DEP_4) | instskip(SKIP_1) | instid1(VALU_DEP_3)
	v_mul_f64 v[6:7], v[6:7], 0.5
	s_waitcnt vmcnt(1)
	v_mul_f64 v[13:14], v[15:16], v[23:24]
	s_delay_alu instid0(VALU_DEP_2) | instskip(SKIP_1) | instid1(VALU_DEP_3)
	v_fma_f64 v[27:28], v[25:26], v[23:24], v[6:7]
	v_fma_f64 v[23:24], v[25:26], v[23:24], -v[6:7]
	v_fma_f64 v[29:30], v[4:5], 0.5, v[13:14]
	v_fma_f64 v[13:14], v[4:5], 0.5, -v[13:14]
	s_delay_alu instid0(VALU_DEP_4) | instskip(NEXT) | instid1(VALU_DEP_4)
	v_fma_f64 v[6:7], -v[21:22], v[15:16], v[27:28]
	v_fma_f64 v[15:16], -v[21:22], v[15:16], v[23:24]
	s_delay_alu instid0(VALU_DEP_4) | instskip(NEXT) | instid1(VALU_DEP_4)
	v_fma_f64 v[4:5], v[25:26], v[21:22], v[29:30]
	v_fma_f64 v[13:14], -v[25:26], v[21:22], v[13:14]
	ds_store_b128 v72, v[4:7] offset:192
	ds_store_b128 v12, v[13:16] offset:640
	ds_load_b128 v[4:7], v72 offset:256
	ds_load_b128 v[13:16], v12 offset:576
	s_waitcnt lgkmcnt(0)
	v_add_f64 v[21:22], v[4:5], -v[13:14]
	v_add_f64 v[23:24], v[6:7], v[15:16]
	v_add_f64 v[6:7], v[6:7], -v[15:16]
	v_add_f64 v[4:5], v[4:5], v[13:14]
	s_delay_alu instid0(VALU_DEP_4) | instskip(NEXT) | instid1(VALU_DEP_4)
	v_mul_f64 v[15:16], v[21:22], 0.5
	v_mul_f64 v[21:22], v[23:24], 0.5
	s_delay_alu instid0(VALU_DEP_4) | instskip(SKIP_1) | instid1(VALU_DEP_3)
	v_mul_f64 v[6:7], v[6:7], 0.5
	s_waitcnt vmcnt(0)
	v_mul_f64 v[13:14], v[15:16], v[19:20]
	s_delay_alu instid0(VALU_DEP_2) | instskip(SKIP_1) | instid1(VALU_DEP_3)
	v_fma_f64 v[23:24], v[21:22], v[19:20], v[6:7]
	v_fma_f64 v[19:20], v[21:22], v[19:20], -v[6:7]
	v_fma_f64 v[25:26], v[4:5], 0.5, v[13:14]
	v_fma_f64 v[13:14], v[4:5], 0.5, -v[13:14]
	s_delay_alu instid0(VALU_DEP_4) | instskip(NEXT) | instid1(VALU_DEP_4)
	v_fma_f64 v[6:7], -v[17:18], v[15:16], v[23:24]
	v_fma_f64 v[15:16], -v[17:18], v[15:16], v[19:20]
	s_delay_alu instid0(VALU_DEP_4) | instskip(NEXT) | instid1(VALU_DEP_4)
	v_fma_f64 v[4:5], v[21:22], v[17:18], v[25:26]
	v_fma_f64 v[13:14], -v[21:22], v[17:18], v[13:14]
	ds_store_b128 v72, v[4:7] offset:256
	ds_store_b128 v12, v[13:16] offset:576
	ds_load_b128 v[4:7], v72 offset:320
	ds_load_b128 v[13:16], v12 offset:512
	s_waitcnt lgkmcnt(0)
	v_add_f64 v[17:18], v[4:5], -v[13:14]
	v_add_f64 v[19:20], v[6:7], v[15:16]
	v_add_f64 v[6:7], v[6:7], -v[15:16]
	v_add_f64 v[4:5], v[4:5], v[13:14]
	s_delay_alu instid0(VALU_DEP_4) | instskip(NEXT) | instid1(VALU_DEP_4)
	v_mul_f64 v[15:16], v[17:18], 0.5
	v_mul_f64 v[17:18], v[19:20], 0.5
	s_delay_alu instid0(VALU_DEP_4) | instskip(NEXT) | instid1(VALU_DEP_3)
	v_mul_f64 v[6:7], v[6:7], 0.5
	v_mul_f64 v[13:14], v[15:16], v[10:11]
	s_delay_alu instid0(VALU_DEP_2) | instskip(SKIP_1) | instid1(VALU_DEP_3)
	v_fma_f64 v[19:20], v[17:18], v[10:11], v[6:7]
	v_fma_f64 v[10:11], v[17:18], v[10:11], -v[6:7]
	v_fma_f64 v[21:22], v[4:5], 0.5, v[13:14]
	v_fma_f64 v[13:14], v[4:5], 0.5, -v[13:14]
	s_delay_alu instid0(VALU_DEP_4) | instskip(NEXT) | instid1(VALU_DEP_4)
	v_fma_f64 v[6:7], -v[8:9], v[15:16], v[19:20]
	v_fma_f64 v[10:11], -v[8:9], v[15:16], v[10:11]
	s_delay_alu instid0(VALU_DEP_4) | instskip(NEXT) | instid1(VALU_DEP_4)
	v_fma_f64 v[4:5], v[17:18], v[8:9], v[21:22]
	v_fma_f64 v[8:9], -v[17:18], v[8:9], v[13:14]
	v_or_b32_e32 v13, 24, v64
	ds_store_b128 v72, v[4:7] offset:320
	ds_store_b128 v12, v[8:11] offset:512
	v_cmpx_gt_u32_e32 26, v13
	s_cbranch_execz .LBB0_23
; %bb.22:
	global_load_b128 v[2:5], v[2:3], off offset:384
	ds_load_b128 v[6:9], v72 offset:384
	ds_load_b128 v[13:16], v12 offset:448
	s_waitcnt lgkmcnt(0)
	v_add_f64 v[10:11], v[6:7], -v[13:14]
	v_add_f64 v[17:18], v[8:9], v[15:16]
	v_add_f64 v[8:9], v[8:9], -v[15:16]
	v_add_f64 v[6:7], v[6:7], v[13:14]
	s_delay_alu instid0(VALU_DEP_4) | instskip(NEXT) | instid1(VALU_DEP_4)
	v_mul_f64 v[10:11], v[10:11], 0.5
	v_mul_f64 v[15:16], v[17:18], 0.5
	s_delay_alu instid0(VALU_DEP_4) | instskip(SKIP_1) | instid1(VALU_DEP_3)
	v_mul_f64 v[8:9], v[8:9], 0.5
	s_waitcnt vmcnt(0)
	v_mul_f64 v[13:14], v[10:11], v[4:5]
	s_delay_alu instid0(VALU_DEP_2) | instskip(SKIP_1) | instid1(VALU_DEP_3)
	v_fma_f64 v[17:18], v[15:16], v[4:5], v[8:9]
	v_fma_f64 v[4:5], v[15:16], v[4:5], -v[8:9]
	v_fma_f64 v[8:9], v[6:7], 0.5, v[13:14]
	v_fma_f64 v[13:14], v[6:7], 0.5, -v[13:14]
	s_delay_alu instid0(VALU_DEP_4) | instskip(NEXT) | instid1(VALU_DEP_4)
	v_fma_f64 v[6:7], -v[2:3], v[10:11], v[17:18]
	v_fma_f64 v[10:11], -v[2:3], v[10:11], v[4:5]
	s_delay_alu instid0(VALU_DEP_4) | instskip(NEXT) | instid1(VALU_DEP_4)
	v_fma_f64 v[4:5], v[15:16], v[2:3], v[8:9]
	v_fma_f64 v[8:9], -v[15:16], v[2:3], v[13:14]
	ds_store_b128 v72, v[4:7] offset:384
	ds_store_b128 v12, v[8:11] offset:448
.LBB0_23:
	s_or_b32 exec_lo, exec_lo, s1
	s_waitcnt lgkmcnt(0)
	s_barrier
	buffer_gl0_inv
	s_and_saveexec_b32 s0, vcc_lo
	s_cbranch_execz .LBB0_26
; %bb.24:
	ds_load_b128 v[4:7], v72
	ds_load_b128 v[8:11], v72 offset:64
	ds_load_b128 v[12:15], v72 offset:128
	;; [unrolled: 1-line block ×12, first 2 shown]
	v_add_co_u32 v2, vcc_lo, s8, v66
	v_add_co_ci_u32_e32 v3, vcc_lo, s9, v67, vcc_lo
	s_delay_alu instid0(VALU_DEP_2) | instskip(NEXT) | instid1(VALU_DEP_2)
	v_add_co_u32 v0, vcc_lo, v2, v0
	v_add_co_ci_u32_e32 v1, vcc_lo, v3, v1, vcc_lo
	v_cmp_eq_u32_e32 vcc_lo, 3, v64
	s_waitcnt lgkmcnt(12)
	global_store_b128 v[0:1], v[4:7], off
	s_waitcnt lgkmcnt(11)
	global_store_b128 v[0:1], v[8:11], off offset:64
	s_waitcnt lgkmcnt(10)
	global_store_b128 v[0:1], v[12:15], off offset:128
	;; [unrolled: 2-line block ×12, first 2 shown]
	s_and_b32 exec_lo, exec_lo, vcc_lo
	s_cbranch_execz .LBB0_26
; %bb.25:
	ds_load_b128 v[4:7], v72 offset:784
	s_waitcnt lgkmcnt(0)
	global_store_b128 v[2:3], v[4:7], off offset:832
.LBB0_26:
	s_nop 0
	s_sendmsg sendmsg(MSG_DEALLOC_VGPRS)
	s_endpgm
	.section	.rodata,"a",@progbits
	.p2align	6, 0x0
	.amdhsa_kernel fft_rtc_fwd_len52_factors_13_4_wgs_64_tpt_4_halfLds_dp_ip_CI_unitstride_sbrr_R2C_dirReg
		.amdhsa_group_segment_fixed_size 0
		.amdhsa_private_segment_fixed_size 0
		.amdhsa_kernarg_size 88
		.amdhsa_user_sgpr_count 15
		.amdhsa_user_sgpr_dispatch_ptr 0
		.amdhsa_user_sgpr_queue_ptr 0
		.amdhsa_user_sgpr_kernarg_segment_ptr 1
		.amdhsa_user_sgpr_dispatch_id 0
		.amdhsa_user_sgpr_private_segment_size 0
		.amdhsa_wavefront_size32 1
		.amdhsa_uses_dynamic_stack 0
		.amdhsa_enable_private_segment 0
		.amdhsa_system_sgpr_workgroup_id_x 1
		.amdhsa_system_sgpr_workgroup_id_y 0
		.amdhsa_system_sgpr_workgroup_id_z 0
		.amdhsa_system_sgpr_workgroup_info 0
		.amdhsa_system_vgpr_workitem_id 0
		.amdhsa_next_free_vgpr 235
		.amdhsa_next_free_sgpr 40
		.amdhsa_reserve_vcc 1
		.amdhsa_float_round_mode_32 0
		.amdhsa_float_round_mode_16_64 0
		.amdhsa_float_denorm_mode_32 3
		.amdhsa_float_denorm_mode_16_64 3
		.amdhsa_dx10_clamp 1
		.amdhsa_ieee_mode 1
		.amdhsa_fp16_overflow 0
		.amdhsa_workgroup_processor_mode 1
		.amdhsa_memory_ordered 1
		.amdhsa_forward_progress 0
		.amdhsa_shared_vgpr_count 0
		.amdhsa_exception_fp_ieee_invalid_op 0
		.amdhsa_exception_fp_denorm_src 0
		.amdhsa_exception_fp_ieee_div_zero 0
		.amdhsa_exception_fp_ieee_overflow 0
		.amdhsa_exception_fp_ieee_underflow 0
		.amdhsa_exception_fp_ieee_inexact 0
		.amdhsa_exception_int_div_zero 0
	.end_amdhsa_kernel
	.text
.Lfunc_end0:
	.size	fft_rtc_fwd_len52_factors_13_4_wgs_64_tpt_4_halfLds_dp_ip_CI_unitstride_sbrr_R2C_dirReg, .Lfunc_end0-fft_rtc_fwd_len52_factors_13_4_wgs_64_tpt_4_halfLds_dp_ip_CI_unitstride_sbrr_R2C_dirReg
                                        ; -- End function
	.section	.AMDGPU.csdata,"",@progbits
; Kernel info:
; codeLenInByte = 9012
; NumSgprs: 42
; NumVgprs: 235
; ScratchSize: 0
; MemoryBound: 0
; FloatMode: 240
; IeeeMode: 1
; LDSByteSize: 0 bytes/workgroup (compile time only)
; SGPRBlocks: 5
; VGPRBlocks: 29
; NumSGPRsForWavesPerEU: 42
; NumVGPRsForWavesPerEU: 235
; Occupancy: 6
; WaveLimiterHint : 1
; COMPUTE_PGM_RSRC2:SCRATCH_EN: 0
; COMPUTE_PGM_RSRC2:USER_SGPR: 15
; COMPUTE_PGM_RSRC2:TRAP_HANDLER: 0
; COMPUTE_PGM_RSRC2:TGID_X_EN: 1
; COMPUTE_PGM_RSRC2:TGID_Y_EN: 0
; COMPUTE_PGM_RSRC2:TGID_Z_EN: 0
; COMPUTE_PGM_RSRC2:TIDIG_COMP_CNT: 0
	.text
	.p2alignl 7, 3214868480
	.fill 96, 4, 3214868480
	.type	__hip_cuid_5f92de7547049d1f,@object ; @__hip_cuid_5f92de7547049d1f
	.section	.bss,"aw",@nobits
	.globl	__hip_cuid_5f92de7547049d1f
__hip_cuid_5f92de7547049d1f:
	.byte	0                               ; 0x0
	.size	__hip_cuid_5f92de7547049d1f, 1

	.ident	"AMD clang version 19.0.0git (https://github.com/RadeonOpenCompute/llvm-project roc-6.4.0 25133 c7fe45cf4b819c5991fe208aaa96edf142730f1d)"
	.section	".note.GNU-stack","",@progbits
	.addrsig
	.addrsig_sym __hip_cuid_5f92de7547049d1f
	.amdgpu_metadata
---
amdhsa.kernels:
  - .args:
      - .actual_access:  read_only
        .address_space:  global
        .offset:         0
        .size:           8
        .value_kind:     global_buffer
      - .offset:         8
        .size:           8
        .value_kind:     by_value
      - .actual_access:  read_only
        .address_space:  global
        .offset:         16
        .size:           8
        .value_kind:     global_buffer
      - .actual_access:  read_only
        .address_space:  global
        .offset:         24
        .size:           8
        .value_kind:     global_buffer
      - .offset:         32
        .size:           8
        .value_kind:     by_value
      - .actual_access:  read_only
        .address_space:  global
        .offset:         40
        .size:           8
        .value_kind:     global_buffer
      - .actual_access:  read_only
        .address_space:  global
        .offset:         48
        .size:           8
        .value_kind:     global_buffer
      - .offset:         56
        .size:           4
        .value_kind:     by_value
      - .actual_access:  read_only
        .address_space:  global
        .offset:         64
        .size:           8
        .value_kind:     global_buffer
      - .actual_access:  read_only
        .address_space:  global
        .offset:         72
        .size:           8
        .value_kind:     global_buffer
      - .address_space:  global
        .offset:         80
        .size:           8
        .value_kind:     global_buffer
    .group_segment_fixed_size: 0
    .kernarg_segment_align: 8
    .kernarg_segment_size: 88
    .language:       OpenCL C
    .language_version:
      - 2
      - 0
    .max_flat_workgroup_size: 64
    .name:           fft_rtc_fwd_len52_factors_13_4_wgs_64_tpt_4_halfLds_dp_ip_CI_unitstride_sbrr_R2C_dirReg
    .private_segment_fixed_size: 0
    .sgpr_count:     42
    .sgpr_spill_count: 0
    .symbol:         fft_rtc_fwd_len52_factors_13_4_wgs_64_tpt_4_halfLds_dp_ip_CI_unitstride_sbrr_R2C_dirReg.kd
    .uniform_work_group_size: 1
    .uses_dynamic_stack: false
    .vgpr_count:     235
    .vgpr_spill_count: 0
    .wavefront_size: 32
    .workgroup_processor_mode: 1
amdhsa.target:   amdgcn-amd-amdhsa--gfx1100
amdhsa.version:
  - 1
  - 2
...

	.end_amdgpu_metadata
